;; amdgpu-corpus repo=ROCm/rocFFT kind=compiled arch=gfx950 opt=O3
	.text
	.amdgcn_target "amdgcn-amd-amdhsa--gfx950"
	.amdhsa_code_object_version 6
	.protected	fft_rtc_back_len56_factors_2_4_7_wgs_56_tpt_14_dim1_sp_op_CI_CI_unitstride_sbrr_C2R_dirReg ; -- Begin function fft_rtc_back_len56_factors_2_4_7_wgs_56_tpt_14_dim1_sp_op_CI_CI_unitstride_sbrr_C2R_dirReg
	.globl	fft_rtc_back_len56_factors_2_4_7_wgs_56_tpt_14_dim1_sp_op_CI_CI_unitstride_sbrr_C2R_dirReg
	.p2align	8
	.type	fft_rtc_back_len56_factors_2_4_7_wgs_56_tpt_14_dim1_sp_op_CI_CI_unitstride_sbrr_C2R_dirReg,@function
fft_rtc_back_len56_factors_2_4_7_wgs_56_tpt_14_dim1_sp_op_CI_CI_unitstride_sbrr_C2R_dirReg: ; @fft_rtc_back_len56_factors_2_4_7_wgs_56_tpt_14_dim1_sp_op_CI_CI_unitstride_sbrr_C2R_dirReg
; %bb.0:
	s_load_dwordx4 s[4:7], s[0:1], 0x18
	v_mul_u32_u24_e32 v2, 0x124a, v0
	v_lshrrev_b32_e32 v1, 16, v2
	v_lshl_add_u32 v12, s2, 2, v1
	v_mov_b32_e32 v13, 0
	s_movk_i32 s8, 0x124a
	v_bfe_u32 v2, v2, 16, 2
	s_waitcnt lgkmcnt(0)
	v_cmp_gt_u64_e32 vcc, s[6:7], v[12:13]
	v_cmp_le_u64_e64 s[2:3], s[6:7], v[12:13]
                                        ; implicit-def: $vgpr4
                                        ; implicit-def: $vgpr14
	s_and_saveexec_b64 s[6:7], s[2:3]
	s_xor_b64 s[2:3], exec, s[6:7]
; %bb.1:
	v_mul_u32_u24_sdwa v1, v0, s8 dst_sel:DWORD dst_unused:UNUSED_PAD src0_sel:WORD_0 src1_sel:DWORD
	v_mov_b32_e32 v3, 14
	v_mul_lo_u16_sdwa v1, v1, v3 dst_sel:DWORD dst_unused:UNUSED_PAD src0_sel:WORD_1 src1_sel:DWORD
	v_sub_u16_e32 v4, v0, v1
	v_sub_u16_e32 v14, v0, v1
                                        ; implicit-def: $vgpr1
                                        ; implicit-def: $vgpr0
; %bb.2:
	s_or_saveexec_b64 s[10:11], s[2:3]
	s_load_dwordx2 s[8:9], s[0:1], 0x0
	s_load_dwordx2 s[6:7], s[4:5], 0x8
	v_mul_u32_u24_e32 v3, 57, v2
	v_lshlrev_b32_e32 v2, 3, v3
	s_xor_b64 exec, exec, s[10:11]
	s_cbranch_execz .LBB0_6
; %bb.3:
	s_load_dwordx2 s[2:3], s[0:1], 0x10
	s_load_dwordx2 s[4:5], s[0:1], 0x50
	v_mul_lo_u16_e32 v1, 14, v1
	v_sub_u16_e32 v4, v0, v1
	v_mov_b32_e32 v7, 0
	s_waitcnt lgkmcnt(0)
	s_load_dwordx2 s[2:3], s[2:3], 0x8
	v_lshlrev_b32_e32 v6, 3, v4
	v_add3_u32 v5, 0, v2, v6
	s_waitcnt lgkmcnt(0)
	v_mad_u64_u32 v[0:1], s[12:13], s2, v12, 0
	v_mov_b32_e32 v8, v1
	v_mad_u64_u32 v[8:9], s[2:3], s3, v12, v[8:9]
	v_mov_b32_e32 v1, v8
	v_lshl_add_u64 v[0:1], v[0:1], 3, s[4:5]
	v_lshl_add_u64 v[8:9], v[0:1], 0, v[6:7]
	global_load_dwordx2 v[10:11], v[8:9], off
	global_load_dwordx2 v[14:15], v[8:9], off offset:112
	global_load_dwordx2 v[16:17], v[8:9], off offset:224
	;; [unrolled: 1-line block ×3, first 2 shown]
	v_cmp_eq_u16_e64 s[2:3], 13, v4
	s_waitcnt vmcnt(2)
	ds_write2_b64 v5, v[10:11], v[14:15] offset1:14
	s_waitcnt vmcnt(0)
	ds_write2_b64 v5, v[16:17], v[18:19] offset0:28 offset1:42
	v_mov_b32_e32 v14, v4
	s_and_saveexec_b64 s[4:5], s[2:3]
	s_cbranch_execz .LBB0_5
; %bb.4:
	global_load_dwordx2 v[0:1], v[0:1], off offset:448
	v_mov_b32_e32 v4, 13
	v_mov_b32_e32 v14, 13
	s_waitcnt vmcnt(0)
	ds_write_b64 v5, v[0:1] offset:344
.LBB0_5:
	s_or_b64 exec, exec, s[4:5]
.LBB0_6:
	s_or_b64 exec, exec, s[10:11]
	v_lshl_add_u32 v13, v3, 3, 0
	v_lshlrev_b32_e32 v5, 3, v14
	v_add_u32_e32 v20, v13, v5
	s_waitcnt lgkmcnt(0)
	; wave barrier
	s_waitcnt lgkmcnt(0)
	v_sub_u32_e32 v3, v13, v5
	ds_read_b32 v1, v20
	ds_read_b32 v6, v3 offset:448
	v_cmp_ne_u16_e64 s[2:3], 0, v4
	s_waitcnt lgkmcnt(0)
	v_add_f32_e32 v0, v6, v1
	v_sub_f32_e32 v1, v1, v6
	s_and_saveexec_b64 s[4:5], s[2:3]
	s_xor_b64 s[2:3], exec, s[4:5]
	s_cbranch_execz .LBB0_8
; %bb.7:
	v_mov_b32_e32 v6, 3
	v_lshlrev_b32_sdwa v6, v6, v4 dst_sel:DWORD dst_unused:UNUSED_PAD src0_sel:DWORD src1_sel:WORD_0
	global_load_dwordx2 v[6:7], v6, s[8:9] offset:432
	ds_read_b32 v11, v3 offset:452
	ds_read_b32 v15, v20 offset:4
	v_mov_b32_e32 v8, v1
	v_mov_b32_e32 v10, v0
	;; [unrolled: 1-line block ×3, first 2 shown]
	s_waitcnt lgkmcnt(0)
	v_add_f32_e32 v9, v11, v15
	v_sub_f32_e32 v11, v15, v11
	v_mov_b32_e32 v16, v9
	s_waitcnt vmcnt(0)
	v_pk_mul_f32 v[18:19], v[8:9], v[6:7] op_sel:[0,1]
	v_pk_fma_f32 v[8:9], v[8:9], v[6:7], v[10:11] op_sel:[0,1,0]
	v_mov_b32_e32 v1, v19
	v_mov_b32_e32 v19, v11
	v_pk_fma_f32 v[22:23], v[6:7], v[16:17], v[8:9] neg_lo:[1,0,0] neg_hi:[1,0,0]
	v_pk_fma_f32 v[8:9], v[6:7], v[16:17], v[8:9] op_sel_hi:[0,1,1]
	v_pk_add_f32 v[0:1], v[0:1], v[18:19] neg_lo:[0,1] neg_hi:[0,1]
	v_mov_b32_e32 v23, v9
	v_pk_fma_f32 v[0:1], v[6:7], v[16:17], v[0:1] op_sel_hi:[0,1,1]
	ds_write_b64 v3, v[0:1] offset:448
	v_mov_b64_e32 v[0:1], v[22:23]
.LBB0_8:
	s_andn2_saveexec_b64 s[2:3], s[2:3]
	s_cbranch_execz .LBB0_10
; %bb.9:
	ds_read_b64 v[6:7], v13 offset:224
	s_mov_b32 s4, 2.0
	s_mov_b32 s5, -2.0
	s_waitcnt lgkmcnt(0)
	v_pk_mul_f32 v[6:7], v[6:7], s[4:5]
	ds_write_b64 v13, v[6:7] offset:224
.LBB0_10:
	s_or_b64 exec, exec, s[2:3]
	s_add_u32 s2, s8, 0x1b0
	s_addc_u32 s3, s9, 0
	v_mov_b32_e32 v15, 0
	v_lshl_add_u64 v[6:7], v[14:15], 3, s[2:3]
	global_load_dwordx2 v[6:7], v[6:7], off offset:112
	ds_write_b64 v20, v[0:1]
	ds_read_b64 v[0:1], v3 offset:336
	ds_read_b64 v[8:9], v20 offset:112
	v_lshlrev_b32_e32 v10, 4, v14
	v_add3_u32 v22, v10, 0, v2
	v_add3_u32 v15, 0, v5, v2
	v_and_b32_e32 v21, 1, v14
	s_waitcnt lgkmcnt(0)
	v_pk_add_f32 v[10:11], v[8:9], v[0:1]
	v_pk_add_f32 v[0:1], v[8:9], v[0:1] neg_lo:[0,1] neg_hi:[0,1]
	v_mov_b32_e32 v8, v11
	v_mov_b32_e32 v9, v0
	;; [unrolled: 1-line block ×3, first 2 shown]
	v_mul_u32_u24_e32 v23, 3, v21
	v_add_u32_e32 v5, v15, v5
	v_cmp_gt_u16_e64 s[2:3], 8, v4
	s_waitcnt vmcnt(0)
	v_pk_mul_f32 v[16:17], v[8:9], v[6:7] op_sel:[0,1]
	s_nop 0
	v_pk_add_f32 v[18:19], v[10:11], v[16:17] op_sel:[0,1] op_sel_hi:[1,0]
	v_mov_b32_e32 v11, v16
	v_mov_b32_e32 v0, v17
	v_pk_fma_f32 v[16:17], v[6:7], v[8:9], v[18:19] neg_lo:[1,0,0] neg_hi:[1,0,0]
	v_pk_fma_f32 v[18:19], v[6:7], v[8:9], v[18:19] op_sel_hi:[0,1,1]
	v_pk_add_f32 v[0:1], v[10:11], v[0:1] neg_lo:[0,1] neg_hi:[0,1]
	v_mov_b32_e32 v17, v19
	v_pk_fma_f32 v[0:1], v[6:7], v[8:9], v[0:1] op_sel_hi:[0,1,1]
	ds_write_b64 v20, v[16:17] offset:112
	ds_write_b64 v3, v[0:1] offset:336
	s_waitcnt lgkmcnt(0)
	; wave barrier
	s_waitcnt lgkmcnt(0)
	s_waitcnt lgkmcnt(0)
	; wave barrier
	s_waitcnt lgkmcnt(0)
	ds_read2_b64 v[6:9], v15 offset0:14 offset1:28
	ds_read_b64 v[0:1], v20
	ds_read_b64 v[10:11], v15 offset:336
	v_lshlrev_b32_e32 v3, 3, v23
	s_waitcnt lgkmcnt(0)
	; wave barrier
	s_waitcnt lgkmcnt(0)
	v_pk_add_f32 v[8:9], v[0:1], v[8:9] neg_lo:[0,1] neg_hi:[0,1]
	v_pk_add_f32 v[10:11], v[6:7], v[10:11] neg_lo:[0,1] neg_hi:[0,1]
	v_pk_fma_f32 v[0:1], v[0:1], 2.0, v[8:9] op_sel_hi:[1,0,1] neg_lo:[0,0,1] neg_hi:[0,0,1]
	v_pk_fma_f32 v[6:7], v[6:7], 2.0, v[10:11] op_sel_hi:[1,0,1] neg_lo:[0,0,1] neg_hi:[0,0,1]
	ds_write2_b64 v5, v[0:1], v[8:9] offset1:1
	ds_write2_b64 v22, v[6:7], v[10:11] offset0:28 offset1:29
	s_waitcnt lgkmcnt(0)
	; wave barrier
	s_waitcnt lgkmcnt(0)
	global_load_dwordx4 v[6:9], v3, s[8:9]
	global_load_dwordx2 v[10:11], v3, s[8:9] offset:16
	v_lshlrev_b32_e32 v0, 2, v14
	v_and_or_b32 v0, v0, 56, v21
	v_lshlrev_b32_e32 v0, 3, v0
	v_add3_u32 v5, 0, v0, v2
	ds_read2_b64 v[0:3], v15 offset0:14 offset1:28
	ds_read_b64 v[16:17], v20
	ds_read_b64 v[18:19], v15 offset:336
	s_waitcnt lgkmcnt(0)
	; wave barrier
	s_waitcnt vmcnt(1) lgkmcnt(0)
	v_pk_mul_f32 v[22:23], v[6:7], v[0:1] op_sel:[0,1]
	v_pk_mul_f32 v[24:25], v[8:9], v[2:3] op_sel:[0,1]
	s_waitcnt vmcnt(0)
	v_pk_mul_f32 v[26:27], v[10:11], v[18:19] op_sel:[0,1]
	v_pk_fma_f32 v[28:29], v[6:7], v[0:1], v[22:23] op_sel:[0,0,1] op_sel_hi:[1,1,0]
	v_pk_fma_f32 v[0:1], v[6:7], v[0:1], v[22:23] op_sel:[0,0,1] op_sel_hi:[1,0,0] neg_lo:[1,0,0] neg_hi:[1,0,0]
	v_pk_fma_f32 v[6:7], v[8:9], v[2:3], v[24:25] op_sel:[0,0,1] op_sel_hi:[1,1,0]
	v_pk_fma_f32 v[2:3], v[8:9], v[2:3], v[24:25] op_sel:[0,0,1] op_sel_hi:[1,0,0] neg_lo:[1,0,0] neg_hi:[1,0,0]
	;; [unrolled: 2-line block ×3, first 2 shown]
	v_mov_b32_e32 v29, v1
	v_mov_b32_e32 v7, v3
	;; [unrolled: 1-line block ×3, first 2 shown]
	v_pk_add_f32 v[0:1], v[16:17], v[6:7] neg_lo:[0,1] neg_hi:[0,1]
	v_pk_add_f32 v[2:3], v[28:29], v[8:9] neg_lo:[0,1] neg_hi:[0,1]
	v_pk_fma_f32 v[6:7], v[16:17], 2.0, v[0:1] op_sel_hi:[1,0,1] neg_lo:[0,0,1] neg_hi:[0,0,1]
	v_pk_fma_f32 v[10:11], v[28:29], 2.0, v[2:3] op_sel_hi:[1,0,1] neg_lo:[0,0,1] neg_hi:[0,0,1]
	v_pk_add_f32 v[18:19], v[0:1], v[2:3] op_sel:[1,0] op_sel_hi:[0,1] neg_lo:[0,1] neg_hi:[0,1]
	v_pk_add_f32 v[8:9], v[0:1], v[2:3] op_sel:[1,0] op_sel_hi:[0,1]
	v_pk_add_f32 v[2:3], v[6:7], v[10:11] neg_lo:[0,1] neg_hi:[0,1]
	v_mov_b32_e32 v10, v9
	v_mov_b32_e32 v11, v18
	v_pk_fma_f32 v[16:17], v[6:7], 2.0, v[2:3] op_sel_hi:[1,0,1] neg_lo:[0,0,1] neg_hi:[0,0,1]
	v_pk_fma_f32 v[0:1], v[0:1], 2.0, v[10:11] op_sel_hi:[1,0,1] neg_lo:[0,0,1] neg_hi:[0,0,1]
	ds_write2_b64 v5, v[2:3], v[10:11] offset0:4 offset1:6
	ds_write2_b64 v5, v[16:17], v[0:1] offset1:2
	s_waitcnt lgkmcnt(0)
	; wave barrier
	s_waitcnt lgkmcnt(0)
                                        ; implicit-def: $vgpr7
                                        ; implicit-def: $vgpr11
	s_and_saveexec_b64 s[4:5], s[2:3]
	s_cbranch_execz .LBB0_12
; %bb.11:
	ds_read_b64 v[16:17], v20
	ds_read2_b64 v[8:11], v15 offset0:24 offset1:32
	ds_read2_b64 v[0:3], v15 offset0:8 offset1:16
	ds_read2_b64 v[4:7], v15 offset0:40 offset1:48
	s_waitcnt lgkmcnt(2)
	v_mov_b32_e32 v18, v9
	v_mov_b32_e32 v9, v8
.LBB0_12:
	s_or_b64 exec, exec, s[4:5]
	s_waitcnt lgkmcnt(0)
	; wave barrier
	s_waitcnt lgkmcnt(0)
	s_and_saveexec_b64 s[4:5], s[2:3]
	s_cbranch_execz .LBB0_14
; %bb.13:
	v_and_b32_e32 v8, 7, v14
	v_mul_u32_u24_e32 v8, 6, v8
	v_lshlrev_b32_e32 v8, 3, v8
	global_load_dwordx4 v[22:25], v8, s[8:9] offset:48
	global_load_dwordx4 v[26:29], v8, s[8:9] offset:80
	;; [unrolled: 1-line block ×3, first 2 shown]
	v_mov_b32_e32 v19, v9
	v_mov_b32_e32 v8, v11
	;; [unrolled: 1-line block ×13, first 2 shown]
	s_mov_b32 s8, 0xbeae86e6
	s_mov_b32 s9, 0x3f08b237
	;; [unrolled: 1-line block ×7, first 2 shown]
	s_waitcnt vmcnt(2)
	v_pk_mul_f32 v[0:1], v[0:1], v[22:23] op_sel_hi:[0,1]
	s_waitcnt vmcnt(1)
	v_pk_mul_f32 v[6:7], v[6:7], v[28:29] op_sel_hi:[0,1]
	s_waitcnt vmcnt(0)
	v_mov_b32_e32 v54, v33
	v_mov_b32_e32 v56, v31
	v_pk_mul_f32 v[2:3], v[2:3], v[24:25] op_sel_hi:[0,1]
	v_pk_mul_f32 v[4:5], v[4:5], v[26:27] op_sel_hi:[0,1]
	v_pk_mul_f32 v[10:11], v[10:11], v[32:33]
	v_pk_mul_f32 v[44:45], v[44:45], v[30:31]
	;; [unrolled: 1-line block ×6, first 2 shown]
	v_pk_fma_f32 v[40:41], v[40:41], v[28:29], v[6:7] op_sel:[0,0,1] op_sel_hi:[1,1,0] neg_lo:[0,0,1] neg_hi:[0,0,1]
	v_pk_fma_f32 v[6:7], v[42:43], v[28:29], v[6:7] op_sel:[0,0,1] op_sel_hi:[0,1,0]
	v_pk_fma_f32 v[28:29], v[36:37], v[22:23], v[0:1] op_sel:[0,0,1] op_sel_hi:[1,1,0] neg_lo:[0,0,1] neg_hi:[0,0,1]
	v_pk_fma_f32 v[0:1], v[38:39], v[22:23], v[0:1] op_sel:[0,0,1] op_sel_hi:[0,1,0]
	;; [unrolled: 2-line block ×3, first 2 shown]
	v_pk_fma_f32 v[26:27], v[46:47], v[24:25], v[2:3] op_sel:[0,0,1] op_sel_hi:[1,1,0] neg_lo:[0,0,1] neg_hi:[0,0,1]
	v_mov_b32_e32 v56, v59
	v_mov_b32_e32 v58, v61
	v_pk_fma_f32 v[2:3], v[48:49], v[24:25], v[2:3] op_sel:[0,0,1] op_sel_hi:[0,1,0]
	v_mov_b32_e32 v11, v28
	v_mov_b32_e32 v9, v40
	;; [unrolled: 1-line block ×4, first 2 shown]
	v_pk_fma_f32 v[18:19], v[18:19], v[30:31], v[56:57] neg_lo:[0,0,1] neg_hi:[0,0,1]
	v_pk_fma_f32 v[24:25], v[34:35], v[32:33], v[58:59] neg_lo:[0,0,1] neg_hi:[0,0,1]
	v_mov_b32_e32 v41, v7
	v_mov_b32_e32 v29, v1
	;; [unrolled: 1-line block ×4, first 2 shown]
	v_pk_add_f32 v[8:9], v[10:11], v[8:9]
	v_pk_add_f32 v[10:11], v[44:45], v[54:55]
	;; [unrolled: 1-line block ×4, first 2 shown]
	v_mov_b32_e32 v25, v8
	v_mov_b32_e32 v19, v10
	v_pk_add_f32 v[4:5], v[28:29], v[40:41] neg_lo:[0,1] neg_hi:[0,1]
	v_pk_add_f32 v[6:7], v[26:27], v[22:23] neg_lo:[0,1] neg_hi:[0,1]
	v_mov_b32_e32 v23, v18
	v_mov_b32_e32 v27, v24
	v_mov_b32_e32 v22, v3
	v_mov_b32_e32 v26, v1
	v_pk_add_f32 v[18:19], v[24:25], v[18:19] neg_lo:[0,1] neg_hi:[0,1]
	v_mov_b32_e32 v33, v5
	v_pk_add_f32 v[34:35], v[10:11], v[8:9]
	v_pk_add_f32 v[22:23], v[22:23], v[26:27]
	v_mov_b32_e32 v30, v18
	v_pk_add_f32 v[24:25], v[18:19], v[6:7]
	v_mov_b32_e32 v32, v18
	v_mov_b32_e32 v18, v6
	;; [unrolled: 1-line block ×5, first 2 shown]
	v_pk_add_f32 v[26:27], v[22:23], v[34:35]
	v_mov_b32_e32 v22, v1
	v_mov_b32_e32 v35, v11
	v_pk_add_f32 v[18:19], v[32:33], v[18:19] neg_lo:[0,1] neg_hi:[0,1]
	v_pk_add_f32 v[28:29], v[28:29], v[30:31] neg_lo:[0,1] neg_hi:[0,1]
	;; [unrolled: 1-line block ×3, first 2 shown]
	v_pk_mul_f32 v[18:19], v[18:19], s[12:13]
	v_mov_b32_e32 v35, v9
	v_mov_b32_e32 v22, v3
	v_pk_mul_f32 v[32:33], v[28:29], s[8:9]
	v_pk_fma_f32 v[28:29], v[28:29], s[8:9], v[18:19]
	v_pk_add_f32 v[22:23], v[34:35], v[22:23] neg_lo:[0,1] neg_hi:[0,1]
	s_mov_b32 s8, s11
	s_mov_b32 s9, s10
	v_pk_add_f32 v[16:17], v[16:17], v[26:27]
	v_pk_mul_f32 v[36:37], v[30:31], s[10:11]
	v_pk_mul_f32 v[22:23], v[22:23], s[8:9]
	s_mov_b32 s8, 0xbf955555
	v_mov_b32_e32 v10, v3
	v_mov_b32_e32 v8, v1
	v_pk_add_f32 v[24:25], v[24:25], v[4:5]
	v_pk_fma_f32 v[30:31], v[30:31], s[10:11], v[22:23]
	v_pk_fma_f32 v[26:27], v[26:27], s[8:9], v[16:17] op_sel_hi:[1,0,1]
	v_pk_add_f32 v[4:5], v[6:7], v[4:5] neg_lo:[0,1] neg_hi:[0,1]
	s_mov_b32 s8, 0xbf5ff5aa
	v_mov_b32_e32 v6, v32
	v_mov_b32_e32 v7, v19
	v_pk_add_f32 v[0:1], v[10:11], v[8:9] neg_lo:[0,1] neg_hi:[0,1]
	s_mov_b32 s10, 0x3f3bfb3b
	v_mov_b32_e32 v2, v36
	v_mov_b32_e32 v3, v23
	v_pk_fma_f32 v[6:7], v[4:5], s[8:9], v[6:7] op_sel_hi:[1,0,1] neg_lo:[1,0,1] neg_hi:[1,0,1]
	v_pk_fma_f32 v[2:3], v[0:1], s[10:11], v[2:3] op_sel_hi:[1,0,1] neg_lo:[1,0,1] neg_hi:[1,0,1]
	v_pk_fma_f32 v[28:29], v[24:25], s[2:3], v[28:29] op_sel_hi:[1,0,1]
	v_pk_add_f32 v[30:31], v[30:31], v[26:27]
	v_pk_fma_f32 v[6:7], v[24:25], s[2:3], v[6:7] op_sel_hi:[1,0,1]
	v_pk_add_f32 v[2:3], v[2:3], v[26:27]
	v_mov_b32_e32 v19, v33
	v_mov_b32_e32 v23, v37
	v_pk_add_f32 v[34:35], v[30:31], v[28:29]
	v_pk_add_f32 v[28:29], v[30:31], v[28:29] neg_lo:[0,1] neg_hi:[0,1]
	v_pk_add_f32 v[8:9], v[2:3], v[6:7]
	v_pk_add_f32 v[2:3], v[2:3], v[6:7] neg_lo:[0,1] neg_hi:[0,1]
	v_pk_fma_f32 v[4:5], v[4:5], s[8:9], v[18:19] op_sel_hi:[1,0,1] neg_lo:[0,0,1] neg_hi:[0,0,1]
	v_pk_fma_f32 v[0:1], v[0:1], s[10:11], v[22:23] op_sel_hi:[1,0,1] neg_lo:[0,0,1] neg_hi:[0,0,1]
	ds_write_b64 v20, v[16:17]
	v_mov_b32_e32 v16, v34
	v_mov_b32_e32 v17, v29
	;; [unrolled: 1-line block ×4, first 2 shown]
	v_pk_fma_f32 v[4:5], v[24:25], s[2:3], v[4:5] op_sel_hi:[1,0,1]
	v_pk_add_f32 v[0:1], v[0:1], v[26:27]
	ds_write2_b64 v15, v[16:17], v[6:7] offset0:8 offset1:16
	v_pk_add_f32 v[6:7], v[0:1], v[4:5] neg_lo:[0,1] neg_hi:[0,1]
	v_pk_add_f32 v[0:1], v[0:1], v[4:5]
	v_mov_b32_e32 v4, v6
	v_mov_b32_e32 v5, v1
	;; [unrolled: 1-line block ×5, first 2 shown]
	ds_write2_b64 v15, v[4:5], v[0:1] offset0:24 offset1:32
	ds_write2_b64 v15, v[2:3], v[28:29] offset0:40 offset1:48
.LBB0_14:
	s_or_b64 exec, exec, s[4:5]
	s_waitcnt lgkmcnt(0)
	; wave barrier
	s_waitcnt lgkmcnt(0)
	s_and_saveexec_b64 s[2:3], vcc
	s_cbranch_execz .LBB0_16
; %bb.15:
	v_mad_u64_u32 v[4:5], s[2:3], s6, v12, 0
	v_mov_b32_e32 v0, v5
	s_load_dwordx2 s[0:1], s[0:1], 0x58
	v_mad_u64_u32 v[6:7], s[2:3], s7, v12, v[0:1]
	v_lshl_add_u32 v7, v14, 3, v13
	ds_read2_b64 v[0:3], v7 offset1:14
	v_mov_b32_e32 v5, v6
	v_mov_b32_e32 v15, 0
	s_waitcnt lgkmcnt(0)
	v_lshl_add_u64 v[8:9], v[4:5], 3, s[0:1]
	v_lshl_add_u64 v[4:5], v[14:15], 3, v[8:9]
	global_store_dwordx2 v[4:5], v[0:1], off
	ds_read2_b64 v[4:7], v7 offset0:28 offset1:42
	v_add_u32_e32 v0, 14, v14
	v_mov_b32_e32 v1, v15
	v_lshl_add_u64 v[0:1], v[0:1], 3, v[8:9]
	global_store_dwordx2 v[0:1], v[2:3], off
	v_add_u32_e32 v0, 28, v14
	v_mov_b32_e32 v1, v15
	v_lshl_add_u64 v[0:1], v[0:1], 3, v[8:9]
	v_add_u32_e32 v14, 42, v14
	s_waitcnt lgkmcnt(0)
	global_store_dwordx2 v[0:1], v[4:5], off
	v_lshl_add_u64 v[0:1], v[14:15], 3, v[8:9]
	global_store_dwordx2 v[0:1], v[6:7], off
.LBB0_16:
	s_endpgm
	.section	.rodata,"a",@progbits
	.p2align	6, 0x0
	.amdhsa_kernel fft_rtc_back_len56_factors_2_4_7_wgs_56_tpt_14_dim1_sp_op_CI_CI_unitstride_sbrr_C2R_dirReg
		.amdhsa_group_segment_fixed_size 0
		.amdhsa_private_segment_fixed_size 0
		.amdhsa_kernarg_size 96
		.amdhsa_user_sgpr_count 2
		.amdhsa_user_sgpr_dispatch_ptr 0
		.amdhsa_user_sgpr_queue_ptr 0
		.amdhsa_user_sgpr_kernarg_segment_ptr 1
		.amdhsa_user_sgpr_dispatch_id 0
		.amdhsa_user_sgpr_kernarg_preload_length 0
		.amdhsa_user_sgpr_kernarg_preload_offset 0
		.amdhsa_user_sgpr_private_segment_size 0
		.amdhsa_uses_dynamic_stack 0
		.amdhsa_enable_private_segment 0
		.amdhsa_system_sgpr_workgroup_id_x 1
		.amdhsa_system_sgpr_workgroup_id_y 0
		.amdhsa_system_sgpr_workgroup_id_z 0
		.amdhsa_system_sgpr_workgroup_info 0
		.amdhsa_system_vgpr_workitem_id 0
		.amdhsa_next_free_vgpr 62
		.amdhsa_next_free_sgpr 14
		.amdhsa_accum_offset 64
		.amdhsa_reserve_vcc 1
		.amdhsa_float_round_mode_32 0
		.amdhsa_float_round_mode_16_64 0
		.amdhsa_float_denorm_mode_32 3
		.amdhsa_float_denorm_mode_16_64 3
		.amdhsa_dx10_clamp 1
		.amdhsa_ieee_mode 1
		.amdhsa_fp16_overflow 0
		.amdhsa_tg_split 0
		.amdhsa_exception_fp_ieee_invalid_op 0
		.amdhsa_exception_fp_denorm_src 0
		.amdhsa_exception_fp_ieee_div_zero 0
		.amdhsa_exception_fp_ieee_overflow 0
		.amdhsa_exception_fp_ieee_underflow 0
		.amdhsa_exception_fp_ieee_inexact 0
		.amdhsa_exception_int_div_zero 0
	.end_amdhsa_kernel
	.text
.Lfunc_end0:
	.size	fft_rtc_back_len56_factors_2_4_7_wgs_56_tpt_14_dim1_sp_op_CI_CI_unitstride_sbrr_C2R_dirReg, .Lfunc_end0-fft_rtc_back_len56_factors_2_4_7_wgs_56_tpt_14_dim1_sp_op_CI_CI_unitstride_sbrr_C2R_dirReg
                                        ; -- End function
	.section	.AMDGPU.csdata,"",@progbits
; Kernel info:
; codeLenInByte = 2336
; NumSgprs: 20
; NumVgprs: 62
; NumAgprs: 0
; TotalNumVgprs: 62
; ScratchSize: 0
; MemoryBound: 0
; FloatMode: 240
; IeeeMode: 1
; LDSByteSize: 0 bytes/workgroup (compile time only)
; SGPRBlocks: 2
; VGPRBlocks: 7
; NumSGPRsForWavesPerEU: 20
; NumVGPRsForWavesPerEU: 62
; AccumOffset: 64
; Occupancy: 8
; WaveLimiterHint : 1
; COMPUTE_PGM_RSRC2:SCRATCH_EN: 0
; COMPUTE_PGM_RSRC2:USER_SGPR: 2
; COMPUTE_PGM_RSRC2:TRAP_HANDLER: 0
; COMPUTE_PGM_RSRC2:TGID_X_EN: 1
; COMPUTE_PGM_RSRC2:TGID_Y_EN: 0
; COMPUTE_PGM_RSRC2:TGID_Z_EN: 0
; COMPUTE_PGM_RSRC2:TIDIG_COMP_CNT: 0
; COMPUTE_PGM_RSRC3_GFX90A:ACCUM_OFFSET: 15
; COMPUTE_PGM_RSRC3_GFX90A:TG_SPLIT: 0
	.text
	.p2alignl 6, 3212836864
	.fill 256, 4, 3212836864
	.type	__hip_cuid_f2d1b2969be77ca3,@object ; @__hip_cuid_f2d1b2969be77ca3
	.section	.bss,"aw",@nobits
	.globl	__hip_cuid_f2d1b2969be77ca3
__hip_cuid_f2d1b2969be77ca3:
	.byte	0                               ; 0x0
	.size	__hip_cuid_f2d1b2969be77ca3, 1

	.ident	"AMD clang version 19.0.0git (https://github.com/RadeonOpenCompute/llvm-project roc-6.4.0 25133 c7fe45cf4b819c5991fe208aaa96edf142730f1d)"
	.section	".note.GNU-stack","",@progbits
	.addrsig
	.addrsig_sym __hip_cuid_f2d1b2969be77ca3
	.amdgpu_metadata
---
amdhsa.kernels:
  - .agpr_count:     0
    .args:
      - .actual_access:  read_only
        .address_space:  global
        .offset:         0
        .size:           8
        .value_kind:     global_buffer
      - .actual_access:  read_only
        .address_space:  global
        .offset:         8
        .size:           8
        .value_kind:     global_buffer
      - .actual_access:  read_only
        .address_space:  global
        .offset:         16
        .size:           8
        .value_kind:     global_buffer
      - .actual_access:  read_only
        .address_space:  global
        .offset:         24
        .size:           8
        .value_kind:     global_buffer
      - .offset:         32
        .size:           8
        .value_kind:     by_value
      - .actual_access:  read_only
        .address_space:  global
        .offset:         40
        .size:           8
        .value_kind:     global_buffer
      - .actual_access:  read_only
        .address_space:  global
        .offset:         48
        .size:           8
        .value_kind:     global_buffer
      - .offset:         56
        .size:           4
        .value_kind:     by_value
      - .actual_access:  read_only
        .address_space:  global
        .offset:         64
        .size:           8
        .value_kind:     global_buffer
      - .actual_access:  read_only
        .address_space:  global
        .offset:         72
        .size:           8
        .value_kind:     global_buffer
      - .actual_access:  read_only
        .address_space:  global
        .offset:         80
        .size:           8
        .value_kind:     global_buffer
      - .actual_access:  write_only
        .address_space:  global
        .offset:         88
        .size:           8
        .value_kind:     global_buffer
    .group_segment_fixed_size: 0
    .kernarg_segment_align: 8
    .kernarg_segment_size: 96
    .language:       OpenCL C
    .language_version:
      - 2
      - 0
    .max_flat_workgroup_size: 56
    .name:           fft_rtc_back_len56_factors_2_4_7_wgs_56_tpt_14_dim1_sp_op_CI_CI_unitstride_sbrr_C2R_dirReg
    .private_segment_fixed_size: 0
    .sgpr_count:     20
    .sgpr_spill_count: 0
    .symbol:         fft_rtc_back_len56_factors_2_4_7_wgs_56_tpt_14_dim1_sp_op_CI_CI_unitstride_sbrr_C2R_dirReg.kd
    .uniform_work_group_size: 1
    .uses_dynamic_stack: false
    .vgpr_count:     62
    .vgpr_spill_count: 0
    .wavefront_size: 64
amdhsa.target:   amdgcn-amd-amdhsa--gfx950
amdhsa.version:
  - 1
  - 2
...

	.end_amdgpu_metadata
